;; amdgpu-corpus repo=ROCm/rocFFT kind=compiled arch=gfx906 opt=O3
	.text
	.amdgcn_target "amdgcn-amd-amdhsa--gfx906"
	.amdhsa_code_object_version 6
	.protected	fft_rtc_back_len42_factors_7_6_wgs_252_tpt_7_halfLds_half_ip_CI_unitstride_sbrr_R2C_dirReg ; -- Begin function fft_rtc_back_len42_factors_7_6_wgs_252_tpt_7_halfLds_half_ip_CI_unitstride_sbrr_R2C_dirReg
	.globl	fft_rtc_back_len42_factors_7_6_wgs_252_tpt_7_halfLds_half_ip_CI_unitstride_sbrr_R2C_dirReg
	.p2align	8
	.type	fft_rtc_back_len42_factors_7_6_wgs_252_tpt_7_halfLds_half_ip_CI_unitstride_sbrr_R2C_dirReg,@function
fft_rtc_back_len42_factors_7_6_wgs_252_tpt_7_halfLds_half_ip_CI_unitstride_sbrr_R2C_dirReg: ; @fft_rtc_back_len42_factors_7_6_wgs_252_tpt_7_halfLds_half_ip_CI_unitstride_sbrr_R2C_dirReg
; %bb.0:
	s_load_dwordx2 s[2:3], s[4:5], 0x50
	s_load_dwordx4 s[8:11], s[4:5], 0x0
	s_load_dwordx2 s[12:13], s[4:5], 0x18
	v_mul_u32_u24_e32 v1, 0x2493, v0
	v_lshrrev_b32_e32 v1, 16, v1
	v_mad_u64_u32 v[1:2], s[0:1], s6, 36, v[1:2]
	v_mov_b32_e32 v5, 0
	s_waitcnt lgkmcnt(0)
	v_cmp_lt_u64_e64 s[0:1], s[10:11], 2
	v_mov_b32_e32 v2, v5
	v_mov_b32_e32 v3, 0
	;; [unrolled: 1-line block ×3, first 2 shown]
	s_and_b64 vcc, exec, s[0:1]
	v_mov_b32_e32 v4, 0
	v_mov_b32_e32 v9, v1
	s_cbranch_vccnz .LBB0_8
; %bb.1:
	s_load_dwordx2 s[0:1], s[4:5], 0x10
	s_add_u32 s6, s12, 8
	s_addc_u32 s7, s13, 0
	v_mov_b32_e32 v3, 0
	v_mov_b32_e32 v8, v2
	s_waitcnt lgkmcnt(0)
	s_add_u32 s16, s0, 8
	s_mov_b64 s[14:15], 1
	v_mov_b32_e32 v4, 0
	s_addc_u32 s17, s1, 0
	v_mov_b32_e32 v7, v1
.LBB0_2:                                ; =>This Inner Loop Header: Depth=1
	s_load_dwordx2 s[18:19], s[16:17], 0x0
                                        ; implicit-def: $vgpr9_vgpr10
	s_waitcnt lgkmcnt(0)
	v_or_b32_e32 v6, s19, v8
	v_cmp_ne_u64_e32 vcc, 0, v[5:6]
	s_and_saveexec_b64 s[0:1], vcc
	s_xor_b64 s[20:21], exec, s[0:1]
	s_cbranch_execz .LBB0_4
; %bb.3:                                ;   in Loop: Header=BB0_2 Depth=1
	v_cvt_f32_u32_e32 v2, s18
	v_cvt_f32_u32_e32 v6, s19
	s_sub_u32 s0, 0, s18
	s_subb_u32 s1, 0, s19
	v_mac_f32_e32 v2, 0x4f800000, v6
	v_rcp_f32_e32 v2, v2
	v_mul_f32_e32 v2, 0x5f7ffffc, v2
	v_mul_f32_e32 v6, 0x2f800000, v2
	v_trunc_f32_e32 v6, v6
	v_mac_f32_e32 v2, 0xcf800000, v6
	v_cvt_u32_f32_e32 v6, v6
	v_cvt_u32_f32_e32 v2, v2
	v_mul_lo_u32 v9, s0, v6
	v_mul_hi_u32 v10, s0, v2
	v_mul_lo_u32 v12, s1, v2
	v_mul_lo_u32 v11, s0, v2
	v_add_u32_e32 v9, v10, v9
	v_add_u32_e32 v9, v9, v12
	v_mul_hi_u32 v10, v2, v11
	v_mul_lo_u32 v12, v2, v9
	v_mul_hi_u32 v14, v2, v9
	v_mul_hi_u32 v13, v6, v11
	v_mul_lo_u32 v11, v6, v11
	v_mul_hi_u32 v15, v6, v9
	v_add_co_u32_e32 v10, vcc, v10, v12
	v_addc_co_u32_e32 v12, vcc, 0, v14, vcc
	v_mul_lo_u32 v9, v6, v9
	v_add_co_u32_e32 v10, vcc, v10, v11
	v_addc_co_u32_e32 v10, vcc, v12, v13, vcc
	v_addc_co_u32_e32 v11, vcc, 0, v15, vcc
	v_add_co_u32_e32 v9, vcc, v10, v9
	v_addc_co_u32_e32 v10, vcc, 0, v11, vcc
	v_add_co_u32_e32 v2, vcc, v2, v9
	v_addc_co_u32_e32 v6, vcc, v6, v10, vcc
	v_mul_lo_u32 v9, s0, v6
	v_mul_hi_u32 v10, s0, v2
	v_mul_lo_u32 v11, s1, v2
	v_mul_lo_u32 v12, s0, v2
	v_add_u32_e32 v9, v10, v9
	v_add_u32_e32 v9, v9, v11
	v_mul_lo_u32 v13, v2, v9
	v_mul_hi_u32 v14, v2, v12
	v_mul_hi_u32 v15, v2, v9
	;; [unrolled: 1-line block ×3, first 2 shown]
	v_mul_lo_u32 v12, v6, v12
	v_mul_hi_u32 v10, v6, v9
	v_add_co_u32_e32 v13, vcc, v14, v13
	v_addc_co_u32_e32 v14, vcc, 0, v15, vcc
	v_mul_lo_u32 v9, v6, v9
	v_add_co_u32_e32 v12, vcc, v13, v12
	v_addc_co_u32_e32 v11, vcc, v14, v11, vcc
	v_addc_co_u32_e32 v10, vcc, 0, v10, vcc
	v_add_co_u32_e32 v9, vcc, v11, v9
	v_addc_co_u32_e32 v10, vcc, 0, v10, vcc
	v_add_co_u32_e32 v2, vcc, v2, v9
	v_addc_co_u32_e32 v6, vcc, v6, v10, vcc
	v_mad_u64_u32 v[9:10], s[0:1], v7, v6, 0
	v_mul_hi_u32 v11, v7, v2
	v_add_co_u32_e32 v13, vcc, v11, v9
	v_addc_co_u32_e32 v14, vcc, 0, v10, vcc
	v_mad_u64_u32 v[9:10], s[0:1], v8, v2, 0
	v_mad_u64_u32 v[11:12], s[0:1], v8, v6, 0
	v_add_co_u32_e32 v2, vcc, v13, v9
	v_addc_co_u32_e32 v2, vcc, v14, v10, vcc
	v_addc_co_u32_e32 v6, vcc, 0, v12, vcc
	v_add_co_u32_e32 v2, vcc, v2, v11
	v_addc_co_u32_e32 v6, vcc, 0, v6, vcc
	v_mul_lo_u32 v11, s19, v2
	v_mul_lo_u32 v12, s18, v6
	v_mad_u64_u32 v[9:10], s[0:1], s18, v2, 0
	v_add3_u32 v10, v10, v12, v11
	v_sub_u32_e32 v11, v8, v10
	v_mov_b32_e32 v12, s19
	v_sub_co_u32_e32 v9, vcc, v7, v9
	v_subb_co_u32_e64 v11, s[0:1], v11, v12, vcc
	v_subrev_co_u32_e64 v12, s[0:1], s18, v9
	v_subbrev_co_u32_e64 v11, s[0:1], 0, v11, s[0:1]
	v_cmp_le_u32_e64 s[0:1], s19, v11
	v_cndmask_b32_e64 v13, 0, -1, s[0:1]
	v_cmp_le_u32_e64 s[0:1], s18, v12
	v_cndmask_b32_e64 v12, 0, -1, s[0:1]
	v_cmp_eq_u32_e64 s[0:1], s19, v11
	v_cndmask_b32_e64 v11, v13, v12, s[0:1]
	v_add_co_u32_e64 v12, s[0:1], 2, v2
	v_addc_co_u32_e64 v13, s[0:1], 0, v6, s[0:1]
	v_add_co_u32_e64 v14, s[0:1], 1, v2
	v_addc_co_u32_e64 v15, s[0:1], 0, v6, s[0:1]
	v_subb_co_u32_e32 v10, vcc, v8, v10, vcc
	v_cmp_ne_u32_e64 s[0:1], 0, v11
	v_cmp_le_u32_e32 vcc, s19, v10
	v_cndmask_b32_e64 v11, v15, v13, s[0:1]
	v_cndmask_b32_e64 v13, 0, -1, vcc
	v_cmp_le_u32_e32 vcc, s18, v9
	v_cndmask_b32_e64 v9, 0, -1, vcc
	v_cmp_eq_u32_e32 vcc, s19, v10
	v_cndmask_b32_e32 v9, v13, v9, vcc
	v_cmp_ne_u32_e32 vcc, 0, v9
	v_cndmask_b32_e32 v10, v6, v11, vcc
	v_cndmask_b32_e64 v6, v14, v12, s[0:1]
	v_cndmask_b32_e32 v9, v2, v6, vcc
.LBB0_4:                                ;   in Loop: Header=BB0_2 Depth=1
	s_andn2_saveexec_b64 s[0:1], s[20:21]
	s_cbranch_execz .LBB0_6
; %bb.5:                                ;   in Loop: Header=BB0_2 Depth=1
	v_cvt_f32_u32_e32 v2, s18
	s_sub_i32 s20, 0, s18
	v_rcp_iflag_f32_e32 v2, v2
	v_mul_f32_e32 v2, 0x4f7ffffe, v2
	v_cvt_u32_f32_e32 v2, v2
	v_mul_lo_u32 v6, s20, v2
	v_mul_hi_u32 v6, v2, v6
	v_add_u32_e32 v2, v2, v6
	v_mul_hi_u32 v2, v7, v2
	v_mul_lo_u32 v6, v2, s18
	v_add_u32_e32 v9, 1, v2
	v_sub_u32_e32 v6, v7, v6
	v_subrev_u32_e32 v10, s18, v6
	v_cmp_le_u32_e32 vcc, s18, v6
	v_cndmask_b32_e32 v6, v6, v10, vcc
	v_cndmask_b32_e32 v2, v2, v9, vcc
	v_add_u32_e32 v9, 1, v2
	v_cmp_le_u32_e32 vcc, s18, v6
	v_cndmask_b32_e32 v9, v2, v9, vcc
	v_mov_b32_e32 v10, v5
.LBB0_6:                                ;   in Loop: Header=BB0_2 Depth=1
	s_or_b64 exec, exec, s[0:1]
	v_mul_lo_u32 v2, v10, s18
	v_mul_lo_u32 v6, v9, s19
	v_mad_u64_u32 v[11:12], s[0:1], v9, s18, 0
	s_load_dwordx2 s[0:1], s[6:7], 0x0
	s_add_u32 s14, s14, 1
	v_add3_u32 v2, v12, v6, v2
	v_sub_co_u32_e32 v6, vcc, v7, v11
	v_subb_co_u32_e32 v2, vcc, v8, v2, vcc
	s_waitcnt lgkmcnt(0)
	v_mul_lo_u32 v2, s0, v2
	v_mul_lo_u32 v7, s1, v6
	v_mad_u64_u32 v[3:4], s[0:1], s0, v6, v[3:4]
	s_addc_u32 s15, s15, 0
	s_add_u32 s6, s6, 8
	v_add3_u32 v4, v7, v4, v2
	v_mov_b32_e32 v6, s10
	v_mov_b32_e32 v7, s11
	s_addc_u32 s7, s7, 0
	v_cmp_ge_u64_e32 vcc, s[14:15], v[6:7]
	s_add_u32 s16, s16, 8
	s_addc_u32 s17, s17, 0
	s_cbranch_vccnz .LBB0_8
; %bb.7:                                ;   in Loop: Header=BB0_2 Depth=1
	v_mov_b32_e32 v7, v9
	v_mov_b32_e32 v8, v10
	s_branch .LBB0_2
.LBB0_8:
	s_lshl_b64 s[0:1], s[10:11], 3
	s_add_u32 s0, s12, s0
	s_addc_u32 s1, s13, s1
	s_load_dwordx2 s[0:1], s[0:1], 0x0
	s_mov_b32 s6, 0x38e38e39
	v_mul_hi_u32 v5, v1, s6
	s_waitcnt lgkmcnt(0)
	v_mul_lo_u32 v6, s0, v10
	v_mul_lo_u32 v7, s1, v9
	v_mad_u64_u32 v[2:3], s[0:1], s0, v9, v[3:4]
	s_load_dwordx2 s[0:1], s[4:5], 0x20
	v_lshrrev_b32_e32 v4, 3, v5
	s_mov_b32 s4, 0x24924925
	v_mul_lo_u32 v4, v4, 36
	v_mul_hi_u32 v5, v0, s4
	v_add3_u32 v3, v7, v3, v6
	s_waitcnt lgkmcnt(0)
	v_cmp_gt_u64_e32 vcc, s[0:1], v[9:10]
	v_sub_u32_e32 v1, v1, v4
	v_mul_u32_u24_e32 v4, 7, v5
	v_mul_u32_u24_e32 v1, 43, v1
	v_sub_u32_e32 v0, v0, v4
	v_lshlrev_b64 v[2:3], 2, v[2:3]
	v_lshlrev_b32_e32 v13, 2, v1
	v_lshlrev_b32_e32 v11, 2, v0
	s_and_saveexec_b64 s[4:5], vcc
	s_cbranch_execz .LBB0_10
; %bb.9:
	v_mov_b32_e32 v1, 0
	v_mov_b32_e32 v4, s3
	v_add_co_u32_e64 v6, s[0:1], s2, v2
	v_addc_co_u32_e64 v7, s[0:1], v4, v3, s[0:1]
	v_lshlrev_b64 v[4:5], 2, v[0:1]
	v_add_co_u32_e64 v4, s[0:1], v6, v4
	v_addc_co_u32_e64 v5, s[0:1], v7, v5, s[0:1]
	global_load_dword v1, v[4:5], off
	global_load_dword v6, v[4:5], off offset:28
	global_load_dword v7, v[4:5], off offset:56
	;; [unrolled: 1-line block ×5, first 2 shown]
	v_add3_u32 v4, 0, v13, v11
	s_waitcnt vmcnt(4)
	ds_write2_b32 v4, v1, v6 offset1:7
	s_waitcnt vmcnt(2)
	ds_write2_b32 v4, v7, v8 offset0:14 offset1:21
	s_waitcnt vmcnt(0)
	ds_write2_b32 v4, v9, v10 offset0:28 offset1:35
.LBB0_10:
	s_or_b64 exec, exec, s[4:5]
	v_add_u32_e32 v1, 0, v13
	v_add_u32_e32 v10, v1, v11
	;; [unrolled: 1-line block ×3, first 2 shown]
	s_waitcnt lgkmcnt(0)
	s_barrier
	v_add_u32_e32 v12, v15, v13
	ds_read_b32 v14, v10
	ds_read2_b32 v[4:5], v12 offset0:6 offset1:12
	ds_read2_b32 v[6:7], v12 offset0:18 offset1:24
	;; [unrolled: 1-line block ×3, first 2 shown]
	v_cmp_gt_u32_e64 s[0:1], 6, v0
	s_waitcnt lgkmcnt(0)
	s_barrier
	s_and_saveexec_b64 s[4:5], s[0:1]
	s_cbranch_execz .LBB0_12
; %bb.11:
	v_pk_add_f16 v16, v4, v9
	v_pk_add_f16 v18, v5, v8
	v_mul_u32_u24_e32 v19, 24, v0
	v_pk_add_f16 v17, v6, v7
	v_add3_u32 v13, v15, v19, v13
	v_pk_add_f16 v15, v18, v16
	s_mov_b32 s0, 0xffff
	v_pk_add_f16 v15, v17, v15
	v_bfi_b32 v19, s0, v16, v17
	v_bfi_b32 v20, s0, v17, v18
	;; [unrolled: 1-line block ×4, first 2 shown]
	v_pk_add_f16 v4, v4, v9 neg_lo:[0,1] neg_hi:[0,1]
	v_pk_add_f16 v6, v7, v6 neg_lo:[0,1] neg_hi:[0,1]
	;; [unrolled: 1-line block ×4, first 2 shown]
	s_mov_b32 s6, 0x3a522b26
	v_alignbit_b32 v9, v4, v6, 16
	v_alignbit_b32 v21, v6, v5, 16
	v_pk_add_f16 v19, v19, v20 neg_lo:[0,1] neg_hi:[0,1]
	s_mov_b32 s1, 0x2b263a52
	v_pk_mul_f16 v17, v17, s6
	v_alignbit_b32 v7, v6, v4, 16
	v_alignbit_b32 v8, v5, v6, 16
	v_pk_add_f16 v9, v9, v21 neg_lo:[0,1] neg_hi:[0,1]
	s_mov_b32 s6, 0xb5743846
	v_pk_mul_f16 v20, v19, s1
	v_pk_fma_f16 v19, v19, s1, v17
	v_pk_add_f16 v7, v7, v8 neg_lo:[0,1] neg_hi:[0,1]
	s_mov_b32 s1, 0x3846b574
	v_pk_mul_f16 v9, v9, s6
	v_pk_add_f16 v6, v6, v5
	v_pk_add_f16 v14, v14, v15
	v_pk_mul_f16 v8, v7, s1
	v_pk_fma_f16 v7, v7, s1, v9
	v_pk_add_f16 v6, v6, v4
	s_mov_b32 s1, 0xb70e
	s_mov_b32 s6, 0xbcab
	v_pk_mul_f16 v21, v6, s1 op_sel_hi:[1,0]
	v_pk_fma_f16 v15, v15, s6, v14 op_sel_hi:[1,0,1]
	v_pk_add_f16 v7, v21, v7 op_sel:[1,0] op_sel_hi:[0,1]
	v_pk_add_f16 v19, v19, v15
	v_pk_add_f16 v21, v19, v7
	v_pk_add_f16 v7, v19, v7 neg_lo:[0,1] neg_hi:[0,1]
	v_pk_add_f16 v4, v5, v4 neg_lo:[0,1] neg_hi:[0,1]
	v_alignbit_b32 v5, v8, v9, 16
	s_mov_b32 s7, 0xbb00
	v_alignbit_b32 v8, v9, v8, 16
	v_bfi_b32 v19, s0, v21, v7
	v_pk_fma_f16 v5, v4, s7, v5 op_sel_hi:[1,0,1] neg_lo:[1,0,1] neg_hi:[1,0,1]
	v_pk_fma_f16 v4, v4, s7, v8 op_sel_hi:[1,0,1] neg_lo:[0,0,1] neg_hi:[0,0,1]
	ds_write2_b32 v13, v14, v19 offset1:1
	v_pk_add_f16 v14, v18, v16 neg_lo:[0,1] neg_hi:[0,1]
	v_bfi_b32 v16, s0, v20, v17
	s_movk_i32 s6, 0x39e0
	v_pk_fma_f16 v5, v6, s1, v5 op_sel_hi:[1,0,1]
	v_pk_fma_f16 v4, v6, s1, v4 op_sel_hi:[1,0,1]
	v_bfi_b32 v6, s0, v17, v20
	v_pk_fma_f16 v16, v14, s6, v16 op_sel_hi:[1,0,1] neg_lo:[1,0,1] neg_hi:[1,0,1]
	v_pk_fma_f16 v6, v14, s6, v6 op_sel_hi:[1,0,1] neg_lo:[0,0,1] neg_hi:[0,0,1]
	v_pk_add_f16 v16, v16, v15
	v_pk_add_f16 v6, v6, v15
	v_pk_add_f16 v18, v16, v5 op_sel:[0,1] op_sel_hi:[1,0]
	v_pk_add_f16 v5, v16, v5 op_sel:[0,1] op_sel_hi:[1,0] neg_lo:[0,1] neg_hi:[0,1]
	v_pk_add_f16 v8, v6, v4 op_sel:[0,1] op_sel_hi:[1,0] neg_lo:[0,1] neg_hi:[0,1]
	v_pk_add_f16 v4, v6, v4 op_sel:[0,1] op_sel_hi:[1,0]
	v_bfi_b32 v16, s0, v18, v5
	v_bfi_b32 v6, s0, v8, v4
	;; [unrolled: 1-line block ×4, first 2 shown]
	ds_write2_b32 v13, v4, v5 offset0:4 offset1:5
	v_bfi_b32 v4, s0, v7, v21
	ds_write2_b32 v13, v16, v6 offset0:2 offset1:3
	ds_write_b32 v13, v4 offset:24
.LBB0_12:
	s_or_b64 exec, exec, s[4:5]
	v_mul_u32_u24_e32 v4, 5, v0
	v_lshlrev_b32_e32 v8, 2, v4
	s_waitcnt lgkmcnt(0)
	s_barrier
	global_load_dwordx4 v[4:7], v8, s[8:9]
	global_load_dword v15, v8, s[8:9] offset:16
	ds_read2_b32 v[8:9], v12 offset0:7 offset1:14
	ds_read2_b32 v[13:14], v12 offset0:21 offset1:28
	s_movk_i32 s1, 0x3aee
	s_mov_b32 s0, 0xbaee
	s_waitcnt lgkmcnt(1)
	v_lshrrev_b32_e32 v16, 16, v8
	v_lshrrev_b32_e32 v17, 16, v9
	s_waitcnt lgkmcnt(0)
	v_lshrrev_b32_e32 v18, 16, v13
	v_lshrrev_b32_e32 v19, 16, v14
	s_waitcnt vmcnt(1)
	v_mul_f16_sdwa v20, v4, v16 dst_sel:DWORD dst_unused:UNUSED_PAD src0_sel:WORD_1 src1_sel:DWORD
	v_mul_f16_sdwa v21, v4, v8 dst_sel:DWORD dst_unused:UNUSED_PAD src0_sel:WORD_1 src1_sel:DWORD
	v_fma_f16 v8, v4, v8, v20
	v_fma_f16 v4, v4, v16, -v21
	ds_read_b32 v16, v10
	ds_read_b32 v21, v12 offset:140
	v_mul_f16_sdwa v22, v5, v17 dst_sel:DWORD dst_unused:UNUSED_PAD src0_sel:WORD_1 src1_sel:DWORD
	v_mul_f16_sdwa v23, v5, v9 dst_sel:DWORD dst_unused:UNUSED_PAD src0_sel:WORD_1 src1_sel:DWORD
	;; [unrolled: 1-line block ×3, first 2 shown]
	v_fma_f16 v9, v5, v9, v22
	v_mul_f16_sdwa v20, v7, v19 dst_sel:DWORD dst_unused:UNUSED_PAD src0_sel:WORD_1 src1_sel:DWORD
	v_mul_f16_sdwa v22, v6, v13 dst_sel:DWORD dst_unused:UNUSED_PAD src0_sel:WORD_1 src1_sel:DWORD
	v_fma_f16 v13, v6, v13, v24
	v_fma_f16 v20, v7, v14, v20
	v_mul_f16_sdwa v14, v7, v14 dst_sel:DWORD dst_unused:UNUSED_PAD src0_sel:WORD_1 src1_sel:DWORD
	v_fma_f16 v6, v6, v18, -v22
	s_waitcnt lgkmcnt(0)
	v_lshrrev_b32_e32 v18, 16, v21
	v_fma_f16 v7, v7, v19, -v14
	s_waitcnt vmcnt(0)
	v_mul_f16_sdwa v14, v15, v18 dst_sel:DWORD dst_unused:UNUSED_PAD src0_sel:WORD_1 src1_sel:DWORD
	v_mul_f16_sdwa v19, v15, v21 dst_sel:DWORD dst_unused:UNUSED_PAD src0_sel:WORD_1 src1_sel:DWORD
	v_fma_f16 v14, v15, v21, v14
	v_fma_f16 v15, v15, v18, -v19
	v_add_f16_e32 v18, v16, v9
	v_add_f16_e32 v19, v9, v20
	v_fma_f16 v5, v5, v17, -v23
	v_lshrrev_b32_e32 v17, 16, v16
	v_sub_f16_e32 v9, v9, v20
	v_add_f16_e32 v18, v18, v20
	v_sub_f16_e32 v20, v6, v15
	v_fma_f16 v16, v19, -0.5, v16
	v_add_f16_e32 v19, v4, v6
	v_add_f16_e32 v6, v6, v15
	v_sub_f16_e32 v21, v5, v7
	v_add_f16_e32 v22, v17, v5
	v_add_f16_e32 v5, v5, v7
	;; [unrolled: 1-line block ×4, first 2 shown]
	v_sub_f16_e32 v13, v13, v14
	v_fma_f16 v4, v6, -0.5, v4
	v_add_f16_e32 v7, v22, v7
	v_fma_f16 v5, v5, -0.5, v17
	v_fma_f16 v8, v24, -0.5, v8
	v_add_f16_e32 v15, v19, v15
	v_fma_f16 v19, v13, s1, v4
	v_add_f16_e32 v14, v23, v14
	v_fma_f16 v17, v9, s1, v5
	v_fma_f16 v5, v9, s0, v5
	;; [unrolled: 1-line block ×5, first 2 shown]
	v_add_f16_e32 v20, v7, v15
	v_sub_f16_e32 v7, v7, v15
	v_mul_f16_e32 v15, 0xbaee, v19
	v_mul_f16_e32 v19, 0.5, v19
	v_fma_f16 v6, v21, s0, v16
	v_add_f16_e32 v13, v18, v14
	v_sub_f16_e32 v14, v18, v14
	v_mul_f16_e32 v18, 0xbaee, v4
	v_mul_f16_e32 v4, -0.5, v4
	v_fma_f16 v15, v9, 0.5, v15
	v_fma_f16 v9, v9, s1, v19
	v_fma_f16 v16, v21, s1, v16
	v_fma_f16 v18, v8, -0.5, v18
	v_fma_f16 v4, v8, s1, v4
	v_add_f16_e32 v8, v6, v15
	v_sub_f16_e32 v6, v6, v15
	v_add_f16_e32 v15, v17, v9
	v_add_f16_e32 v19, v16, v18
	v_sub_f16_e32 v16, v16, v18
	v_add_f16_e32 v18, v5, v4
	v_sub_f16_e32 v4, v5, v4
	v_pack_b32_f16 v5, v13, v20
	v_pack_b32_f16 v8, v8, v15
	s_barrier
	v_sub_f16_e32 v9, v17, v9
	ds_write2_b32 v12, v5, v8 offset1:7
	v_pack_b32_f16 v5, v19, v18
	v_pack_b32_f16 v7, v14, v7
	ds_write2_b32 v12, v5, v7 offset0:14 offset1:21
	v_pack_b32_f16 v5, v6, v9
	v_pack_b32_f16 v4, v16, v4
	ds_write2_b32 v12, v5, v4 offset0:28 offset1:35
	s_waitcnt lgkmcnt(0)
	s_barrier
	ds_read_b32 v12, v10
	v_sub_u32_e32 v6, v1, v11
	v_cmp_ne_u32_e64 s[0:1], 0, v0
                                        ; implicit-def: $vgpr8
                                        ; implicit-def: $vgpr7
                                        ; implicit-def: $vgpr9
                                        ; implicit-def: $vgpr4_vgpr5
	s_and_saveexec_b64 s[4:5], s[0:1]
	s_xor_b64 s[4:5], exec, s[4:5]
	s_cbranch_execz .LBB0_14
; %bb.13:
	v_mov_b32_e32 v1, 0
	v_lshlrev_b64 v[4:5], 2, v[0:1]
	v_mov_b32_e32 v7, s9
	v_add_co_u32_e64 v4, s[0:1], s8, v4
	v_addc_co_u32_e64 v5, s[0:1], v7, v5, s[0:1]
	global_load_dword v4, v[4:5], off offset:140
	ds_read_b32 v5, v6 offset:168
	s_mov_b32 s0, 0xffff
	s_waitcnt lgkmcnt(0)
	v_pk_add_f16 v7, v12, v5 neg_lo:[0,1] neg_hi:[0,1]
	v_pk_add_f16 v5, v5, v12
	v_bfi_b32 v8, s0, v7, v5
	v_bfi_b32 v5, s0, v5, v7
	v_pk_mul_f16 v7, v8, 0.5 op_sel_hi:[1,0]
	v_pk_mul_f16 v8, v5, 0.5 op_sel_hi:[1,0]
                                        ; implicit-def: $vgpr12
	s_waitcnt vmcnt(0)
	v_pk_mul_f16 v9, v4, v7 op_sel:[1,0]
	v_pk_mul_f16 v4, v4, v7 op_sel_hi:[0,1]
	v_pk_fma_f16 v5, v5, 0.5, v9 op_sel_hi:[1,0,1]
	v_sub_f16_e32 v7, v8, v9
	v_sub_f16_sdwa v8, v9, v8 dst_sel:DWORD dst_unused:UNUSED_PAD src0_sel:WORD_1 src1_sel:WORD_1
	v_pk_add_f16 v11, v5, v4 op_sel:[0,1] op_sel_hi:[1,0]
	v_pk_add_f16 v5, v5, v4 op_sel:[0,1] op_sel_hi:[1,0] neg_lo:[0,1] neg_hi:[0,1]
	v_sub_f16_sdwa v7, v7, v4 dst_sel:DWORD dst_unused:UNUSED_PAD src0_sel:DWORD src1_sel:WORD_1
	v_sub_f16_e32 v9, v8, v4
	v_bfi_b32 v8, s0, v11, v5
	v_mov_b32_e32 v5, v1
	v_mov_b32_e32 v4, v0
                                        ; implicit-def: $vgpr1
.LBB0_14:
	s_andn2_saveexec_b64 s[0:1], s[4:5]
	s_cbranch_execz .LBB0_16
; %bb.15:
	ds_read_u16 v4, v1 offset:86
	s_waitcnt lgkmcnt(1)
	v_alignbit_b32 v5, s0, v12, 16
	v_pk_add_f16 v5, v5, v12
	v_pack_b32_f16 v8, v5, 0
	v_sub_f16_sdwa v7, v12, v12 dst_sel:DWORD dst_unused:UNUSED_PAD src0_sel:DWORD src1_sel:WORD_1
	s_waitcnt lgkmcnt(0)
	v_xor_b32_e32 v4, 0x8000, v4
	ds_write_b16 v1, v4 offset:86
	v_mov_b32_e32 v4, 0
	v_mov_b32_e32 v5, 0
	;; [unrolled: 1-line block ×3, first 2 shown]
.LBB0_16:
	s_or_b64 exec, exec, s[0:1]
	s_add_u32 s0, s8, 0x8c
	v_lshlrev_b64 v[4:5], 2, v[4:5]
	s_addc_u32 s1, s9, 0
	v_mov_b32_e32 v1, s1
	v_add_co_u32_e64 v11, s[0:1], s0, v4
	s_waitcnt lgkmcnt(0)
	v_addc_co_u32_e64 v12, s[0:1], v1, v5, s[0:1]
	global_load_dword v1, v[11:12], off offset:28
	global_load_dword v13, v[11:12], off offset:56
	ds_write_b16 v6, v9 offset:170
	ds_write_b32 v10, v8
	ds_write_b16 v6, v7 offset:168
	ds_read_b32 v7, v10 offset:28
	ds_read_b32 v8, v6 offset:140
	s_mov_b32 s0, 0xffff
	s_waitcnt lgkmcnt(0)
	v_pk_add_f16 v9, v7, v8 neg_lo:[0,1] neg_hi:[0,1]
	v_pk_add_f16 v7, v7, v8
	v_bfi_b32 v8, s0, v9, v7
	v_bfi_b32 v7, s0, v7, v9
	v_pk_mul_f16 v8, v8, 0.5 op_sel_hi:[1,0]
	v_pk_mul_f16 v7, v7, 0.5 op_sel_hi:[1,0]
	s_waitcnt vmcnt(1)
	v_pk_fma_f16 v9, v1, v8, v7 op_sel:[1,0,0]
	v_pk_mul_f16 v11, v1, v8 op_sel_hi:[0,1]
	v_pk_fma_f16 v12, v1, v8, v7 op_sel:[1,0,0] neg_lo:[1,0,0] neg_hi:[1,0,0]
	v_pk_fma_f16 v1, v1, v8, v7 op_sel:[1,0,0] neg_lo:[0,0,1] neg_hi:[0,0,1]
	v_pk_add_f16 v7, v9, v11 op_sel:[0,1] op_sel_hi:[1,0]
	v_pk_add_f16 v8, v9, v11 op_sel:[0,1] op_sel_hi:[1,0] neg_lo:[0,1] neg_hi:[0,1]
	v_pk_add_f16 v9, v12, v11 op_sel:[0,1] op_sel_hi:[1,0] neg_lo:[0,1] neg_hi:[0,1]
	;; [unrolled: 1-line block ×3, first 2 shown]
	v_bfi_b32 v7, s0, v7, v8
	v_bfi_b32 v1, s0, v9, v1
	ds_write_b32 v10, v7 offset:28
	ds_write_b32 v6, v1 offset:140
	ds_read_b32 v1, v10 offset:56
	ds_read_b32 v7, v6 offset:112
	s_waitcnt lgkmcnt(0)
	v_pk_add_f16 v8, v1, v7 neg_lo:[0,1] neg_hi:[0,1]
	v_pk_add_f16 v1, v1, v7
	v_bfi_b32 v7, s0, v8, v1
	v_bfi_b32 v1, s0, v1, v8
	v_pk_mul_f16 v7, v7, 0.5 op_sel_hi:[1,0]
	v_pk_mul_f16 v1, v1, 0.5 op_sel_hi:[1,0]
	s_waitcnt vmcnt(0)
	v_pk_fma_f16 v8, v13, v7, v1 op_sel:[1,0,0]
	v_pk_mul_f16 v9, v13, v7 op_sel_hi:[0,1]
	v_pk_fma_f16 v11, v13, v7, v1 op_sel:[1,0,0] neg_lo:[1,0,0] neg_hi:[1,0,0]
	v_pk_fma_f16 v1, v13, v7, v1 op_sel:[1,0,0] neg_lo:[0,0,1] neg_hi:[0,0,1]
	v_pk_add_f16 v7, v8, v9 op_sel:[0,1] op_sel_hi:[1,0]
	v_pk_add_f16 v8, v8, v9 op_sel:[0,1] op_sel_hi:[1,0] neg_lo:[0,1] neg_hi:[0,1]
	v_pk_add_f16 v11, v11, v9 op_sel:[0,1] op_sel_hi:[1,0] neg_lo:[0,1] neg_hi:[0,1]
	;; [unrolled: 1-line block ×3, first 2 shown]
	v_bfi_b32 v7, s0, v7, v8
	v_bfi_b32 v1, s0, v11, v1
	ds_write_b32 v10, v7 offset:56
	ds_write_b32 v6, v1 offset:112
	s_waitcnt lgkmcnt(0)
	s_barrier
	s_and_saveexec_b64 s[0:1], vcc
	s_cbranch_execz .LBB0_19
; %bb.17:
	v_mov_b32_e32 v6, s3
	v_add_co_u32_e32 v1, vcc, s2, v2
	v_addc_co_u32_e32 v2, vcc, v6, v3, vcc
	ds_read2_b32 v[6:7], v10 offset1:7
	ds_read2_b32 v[8:9], v10 offset0:14 offset1:21
	v_add_co_u32_e32 v3, vcc, v1, v4
	v_addc_co_u32_e32 v4, vcc, v2, v5, vcc
	ds_read2_b32 v[11:12], v10 offset0:28 offset1:35
	v_cmp_eq_u32_e32 vcc, 6, v0
	s_waitcnt lgkmcnt(2)
	global_store_dword v[3:4], v6, off
	global_store_dword v[3:4], v7, off offset:28
	s_waitcnt lgkmcnt(1)
	global_store_dword v[3:4], v8, off offset:56
	global_store_dword v[3:4], v9, off offset:84
	s_waitcnt lgkmcnt(0)
	global_store_dword v[3:4], v11, off offset:112
	global_store_dword v[3:4], v12, off offset:140
	s_and_b64 exec, exec, vcc
	s_cbranch_execz .LBB0_19
; %bb.18:
	ds_read_b32 v0, v10 offset:144
	s_waitcnt lgkmcnt(0)
	global_store_dword v[1:2], v0, off offset:168
.LBB0_19:
	s_endpgm
	.section	.rodata,"a",@progbits
	.p2align	6, 0x0
	.amdhsa_kernel fft_rtc_back_len42_factors_7_6_wgs_252_tpt_7_halfLds_half_ip_CI_unitstride_sbrr_R2C_dirReg
		.amdhsa_group_segment_fixed_size 0
		.amdhsa_private_segment_fixed_size 0
		.amdhsa_kernarg_size 88
		.amdhsa_user_sgpr_count 6
		.amdhsa_user_sgpr_private_segment_buffer 1
		.amdhsa_user_sgpr_dispatch_ptr 0
		.amdhsa_user_sgpr_queue_ptr 0
		.amdhsa_user_sgpr_kernarg_segment_ptr 1
		.amdhsa_user_sgpr_dispatch_id 0
		.amdhsa_user_sgpr_flat_scratch_init 0
		.amdhsa_user_sgpr_private_segment_size 0
		.amdhsa_uses_dynamic_stack 0
		.amdhsa_system_sgpr_private_segment_wavefront_offset 0
		.amdhsa_system_sgpr_workgroup_id_x 1
		.amdhsa_system_sgpr_workgroup_id_y 0
		.amdhsa_system_sgpr_workgroup_id_z 0
		.amdhsa_system_sgpr_workgroup_info 0
		.amdhsa_system_vgpr_workitem_id 0
		.amdhsa_next_free_vgpr 25
		.amdhsa_next_free_sgpr 22
		.amdhsa_reserve_vcc 1
		.amdhsa_reserve_flat_scratch 0
		.amdhsa_float_round_mode_32 0
		.amdhsa_float_round_mode_16_64 0
		.amdhsa_float_denorm_mode_32 3
		.amdhsa_float_denorm_mode_16_64 3
		.amdhsa_dx10_clamp 1
		.amdhsa_ieee_mode 1
		.amdhsa_fp16_overflow 0
		.amdhsa_exception_fp_ieee_invalid_op 0
		.amdhsa_exception_fp_denorm_src 0
		.amdhsa_exception_fp_ieee_div_zero 0
		.amdhsa_exception_fp_ieee_overflow 0
		.amdhsa_exception_fp_ieee_underflow 0
		.amdhsa_exception_fp_ieee_inexact 0
		.amdhsa_exception_int_div_zero 0
	.end_amdhsa_kernel
	.text
.Lfunc_end0:
	.size	fft_rtc_back_len42_factors_7_6_wgs_252_tpt_7_halfLds_half_ip_CI_unitstride_sbrr_R2C_dirReg, .Lfunc_end0-fft_rtc_back_len42_factors_7_6_wgs_252_tpt_7_halfLds_half_ip_CI_unitstride_sbrr_R2C_dirReg
                                        ; -- End function
	.section	.AMDGPU.csdata,"",@progbits
; Kernel info:
; codeLenInByte = 3516
; NumSgprs: 26
; NumVgprs: 25
; ScratchSize: 0
; MemoryBound: 0
; FloatMode: 240
; IeeeMode: 1
; LDSByteSize: 0 bytes/workgroup (compile time only)
; SGPRBlocks: 3
; VGPRBlocks: 6
; NumSGPRsForWavesPerEU: 26
; NumVGPRsForWavesPerEU: 25
; Occupancy: 9
; WaveLimiterHint : 1
; COMPUTE_PGM_RSRC2:SCRATCH_EN: 0
; COMPUTE_PGM_RSRC2:USER_SGPR: 6
; COMPUTE_PGM_RSRC2:TRAP_HANDLER: 0
; COMPUTE_PGM_RSRC2:TGID_X_EN: 1
; COMPUTE_PGM_RSRC2:TGID_Y_EN: 0
; COMPUTE_PGM_RSRC2:TGID_Z_EN: 0
; COMPUTE_PGM_RSRC2:TIDIG_COMP_CNT: 0
	.type	__hip_cuid_f6203d0c3ef579b,@object ; @__hip_cuid_f6203d0c3ef579b
	.section	.bss,"aw",@nobits
	.globl	__hip_cuid_f6203d0c3ef579b
__hip_cuid_f6203d0c3ef579b:
	.byte	0                               ; 0x0
	.size	__hip_cuid_f6203d0c3ef579b, 1

	.ident	"AMD clang version 19.0.0git (https://github.com/RadeonOpenCompute/llvm-project roc-6.4.0 25133 c7fe45cf4b819c5991fe208aaa96edf142730f1d)"
	.section	".note.GNU-stack","",@progbits
	.addrsig
	.addrsig_sym __hip_cuid_f6203d0c3ef579b
	.amdgpu_metadata
---
amdhsa.kernels:
  - .args:
      - .actual_access:  read_only
        .address_space:  global
        .offset:         0
        .size:           8
        .value_kind:     global_buffer
      - .offset:         8
        .size:           8
        .value_kind:     by_value
      - .actual_access:  read_only
        .address_space:  global
        .offset:         16
        .size:           8
        .value_kind:     global_buffer
      - .actual_access:  read_only
        .address_space:  global
        .offset:         24
        .size:           8
        .value_kind:     global_buffer
      - .offset:         32
        .size:           8
        .value_kind:     by_value
      - .actual_access:  read_only
        .address_space:  global
        .offset:         40
        .size:           8
        .value_kind:     global_buffer
      - .actual_access:  read_only
        .address_space:  global
        .offset:         48
        .size:           8
        .value_kind:     global_buffer
      - .offset:         56
        .size:           4
        .value_kind:     by_value
      - .actual_access:  read_only
        .address_space:  global
        .offset:         64
        .size:           8
        .value_kind:     global_buffer
      - .actual_access:  read_only
        .address_space:  global
        .offset:         72
        .size:           8
        .value_kind:     global_buffer
      - .address_space:  global
        .offset:         80
        .size:           8
        .value_kind:     global_buffer
    .group_segment_fixed_size: 0
    .kernarg_segment_align: 8
    .kernarg_segment_size: 88
    .language:       OpenCL C
    .language_version:
      - 2
      - 0
    .max_flat_workgroup_size: 252
    .name:           fft_rtc_back_len42_factors_7_6_wgs_252_tpt_7_halfLds_half_ip_CI_unitstride_sbrr_R2C_dirReg
    .private_segment_fixed_size: 0
    .sgpr_count:     26
    .sgpr_spill_count: 0
    .symbol:         fft_rtc_back_len42_factors_7_6_wgs_252_tpt_7_halfLds_half_ip_CI_unitstride_sbrr_R2C_dirReg.kd
    .uniform_work_group_size: 1
    .uses_dynamic_stack: false
    .vgpr_count:     25
    .vgpr_spill_count: 0
    .wavefront_size: 64
amdhsa.target:   amdgcn-amd-amdhsa--gfx906
amdhsa.version:
  - 1
  - 2
...

	.end_amdgpu_metadata
